;; amdgpu-corpus repo=ROCm/rocFFT kind=compiled arch=gfx906 opt=O3
	.text
	.amdgcn_target "amdgcn-amd-amdhsa--gfx906"
	.amdhsa_code_object_version 6
	.protected	fft_rtc_back_len1274_factors_2_13_7_7_wgs_182_tpt_182_halfLds_sp_ip_CI_sbrr_dirReg ; -- Begin function fft_rtc_back_len1274_factors_2_13_7_7_wgs_182_tpt_182_halfLds_sp_ip_CI_sbrr_dirReg
	.globl	fft_rtc_back_len1274_factors_2_13_7_7_wgs_182_tpt_182_halfLds_sp_ip_CI_sbrr_dirReg
	.p2align	8
	.type	fft_rtc_back_len1274_factors_2_13_7_7_wgs_182_tpt_182_halfLds_sp_ip_CI_sbrr_dirReg,@function
fft_rtc_back_len1274_factors_2_13_7_7_wgs_182_tpt_182_halfLds_sp_ip_CI_sbrr_dirReg: ; @fft_rtc_back_len1274_factors_2_13_7_7_wgs_182_tpt_182_halfLds_sp_ip_CI_sbrr_dirReg
; %bb.0:
	s_load_dwordx2 s[2:3], s[4:5], 0x18
	s_load_dwordx4 s[8:11], s[4:5], 0x0
	s_load_dwordx2 s[14:15], s[4:5], 0x50
	v_mul_u32_u24_e32 v1, 0x169, v0
	v_add_u32_sdwa v5, s6, v1 dst_sel:DWORD dst_unused:UNUSED_PAD src0_sel:DWORD src1_sel:WORD_1
	s_waitcnt lgkmcnt(0)
	s_load_dwordx2 s[12:13], s[2:3], 0x0
	v_cmp_lt_u64_e64 s[0:1], s[10:11], 2
	v_mov_b32_e32 v3, 0
	v_mov_b32_e32 v1, 0
	;; [unrolled: 1-line block ×3, first 2 shown]
	s_and_b64 vcc, exec, s[0:1]
	v_mov_b32_e32 v2, 0
	s_cbranch_vccnz .LBB0_8
; %bb.1:
	s_load_dwordx2 s[0:1], s[4:5], 0x10
	s_add_u32 s6, s2, 8
	s_addc_u32 s7, s3, 0
	v_mov_b32_e32 v1, 0
	v_mov_b32_e32 v2, 0
	s_waitcnt lgkmcnt(0)
	s_add_u32 s16, s0, 8
	s_addc_u32 s17, s1, 0
	s_mov_b64 s[18:19], 1
.LBB0_2:                                ; =>This Inner Loop Header: Depth=1
	s_load_dwordx2 s[20:21], s[16:17], 0x0
                                        ; implicit-def: $vgpr7_vgpr8
	s_waitcnt lgkmcnt(0)
	v_or_b32_e32 v4, s21, v6
	v_cmp_ne_u64_e32 vcc, 0, v[3:4]
	s_and_saveexec_b64 s[0:1], vcc
	s_xor_b64 s[22:23], exec, s[0:1]
	s_cbranch_execz .LBB0_4
; %bb.3:                                ;   in Loop: Header=BB0_2 Depth=1
	v_cvt_f32_u32_e32 v4, s20
	v_cvt_f32_u32_e32 v7, s21
	s_sub_u32 s0, 0, s20
	s_subb_u32 s1, 0, s21
	v_mac_f32_e32 v4, 0x4f800000, v7
	v_rcp_f32_e32 v4, v4
	v_mul_f32_e32 v4, 0x5f7ffffc, v4
	v_mul_f32_e32 v7, 0x2f800000, v4
	v_trunc_f32_e32 v7, v7
	v_mac_f32_e32 v4, 0xcf800000, v7
	v_cvt_u32_f32_e32 v7, v7
	v_cvt_u32_f32_e32 v4, v4
	v_mul_lo_u32 v8, s0, v7
	v_mul_hi_u32 v9, s0, v4
	v_mul_lo_u32 v11, s1, v4
	v_mul_lo_u32 v10, s0, v4
	v_add_u32_e32 v8, v9, v8
	v_add_u32_e32 v8, v8, v11
	v_mul_hi_u32 v9, v4, v10
	v_mul_lo_u32 v11, v4, v8
	v_mul_hi_u32 v13, v4, v8
	v_mul_hi_u32 v12, v7, v10
	v_mul_lo_u32 v10, v7, v10
	v_mul_hi_u32 v14, v7, v8
	v_add_co_u32_e32 v9, vcc, v9, v11
	v_addc_co_u32_e32 v11, vcc, 0, v13, vcc
	v_mul_lo_u32 v8, v7, v8
	v_add_co_u32_e32 v9, vcc, v9, v10
	v_addc_co_u32_e32 v9, vcc, v11, v12, vcc
	v_addc_co_u32_e32 v10, vcc, 0, v14, vcc
	v_add_co_u32_e32 v8, vcc, v9, v8
	v_addc_co_u32_e32 v9, vcc, 0, v10, vcc
	v_add_co_u32_e32 v4, vcc, v4, v8
	v_addc_co_u32_e32 v7, vcc, v7, v9, vcc
	v_mul_lo_u32 v8, s0, v7
	v_mul_hi_u32 v9, s0, v4
	v_mul_lo_u32 v10, s1, v4
	v_mul_lo_u32 v11, s0, v4
	v_add_u32_e32 v8, v9, v8
	v_add_u32_e32 v8, v8, v10
	v_mul_lo_u32 v12, v4, v8
	v_mul_hi_u32 v13, v4, v11
	v_mul_hi_u32 v14, v4, v8
	;; [unrolled: 1-line block ×3, first 2 shown]
	v_mul_lo_u32 v11, v7, v11
	v_mul_hi_u32 v9, v7, v8
	v_add_co_u32_e32 v12, vcc, v13, v12
	v_addc_co_u32_e32 v13, vcc, 0, v14, vcc
	v_mul_lo_u32 v8, v7, v8
	v_add_co_u32_e32 v11, vcc, v12, v11
	v_addc_co_u32_e32 v10, vcc, v13, v10, vcc
	v_addc_co_u32_e32 v9, vcc, 0, v9, vcc
	v_add_co_u32_e32 v8, vcc, v10, v8
	v_addc_co_u32_e32 v9, vcc, 0, v9, vcc
	v_add_co_u32_e32 v4, vcc, v4, v8
	v_addc_co_u32_e32 v9, vcc, v7, v9, vcc
	v_mad_u64_u32 v[7:8], s[0:1], v5, v9, 0
	v_mul_hi_u32 v10, v5, v4
	v_add_co_u32_e32 v11, vcc, v10, v7
	v_addc_co_u32_e32 v12, vcc, 0, v8, vcc
	v_mad_u64_u32 v[7:8], s[0:1], v6, v4, 0
	v_mad_u64_u32 v[9:10], s[0:1], v6, v9, 0
	v_add_co_u32_e32 v4, vcc, v11, v7
	v_addc_co_u32_e32 v4, vcc, v12, v8, vcc
	v_addc_co_u32_e32 v7, vcc, 0, v10, vcc
	v_add_co_u32_e32 v4, vcc, v4, v9
	v_addc_co_u32_e32 v9, vcc, 0, v7, vcc
	v_mul_lo_u32 v10, s21, v4
	v_mul_lo_u32 v11, s20, v9
	v_mad_u64_u32 v[7:8], s[0:1], s20, v4, 0
	v_add3_u32 v8, v8, v11, v10
	v_sub_u32_e32 v10, v6, v8
	v_mov_b32_e32 v11, s21
	v_sub_co_u32_e32 v7, vcc, v5, v7
	v_subb_co_u32_e64 v10, s[0:1], v10, v11, vcc
	v_subrev_co_u32_e64 v11, s[0:1], s20, v7
	v_subbrev_co_u32_e64 v10, s[0:1], 0, v10, s[0:1]
	v_cmp_le_u32_e64 s[0:1], s21, v10
	v_cndmask_b32_e64 v12, 0, -1, s[0:1]
	v_cmp_le_u32_e64 s[0:1], s20, v11
	v_cndmask_b32_e64 v11, 0, -1, s[0:1]
	v_cmp_eq_u32_e64 s[0:1], s21, v10
	v_cndmask_b32_e64 v10, v12, v11, s[0:1]
	v_add_co_u32_e64 v11, s[0:1], 2, v4
	v_addc_co_u32_e64 v12, s[0:1], 0, v9, s[0:1]
	v_add_co_u32_e64 v13, s[0:1], 1, v4
	v_addc_co_u32_e64 v14, s[0:1], 0, v9, s[0:1]
	v_subb_co_u32_e32 v8, vcc, v6, v8, vcc
	v_cmp_ne_u32_e64 s[0:1], 0, v10
	v_cmp_le_u32_e32 vcc, s21, v8
	v_cndmask_b32_e64 v10, v14, v12, s[0:1]
	v_cndmask_b32_e64 v12, 0, -1, vcc
	v_cmp_le_u32_e32 vcc, s20, v7
	v_cndmask_b32_e64 v7, 0, -1, vcc
	v_cmp_eq_u32_e32 vcc, s21, v8
	v_cndmask_b32_e32 v7, v12, v7, vcc
	v_cmp_ne_u32_e32 vcc, 0, v7
	v_cndmask_b32_e64 v7, v13, v11, s[0:1]
	v_cndmask_b32_e32 v8, v9, v10, vcc
	v_cndmask_b32_e32 v7, v4, v7, vcc
.LBB0_4:                                ;   in Loop: Header=BB0_2 Depth=1
	s_andn2_saveexec_b64 s[0:1], s[22:23]
	s_cbranch_execz .LBB0_6
; %bb.5:                                ;   in Loop: Header=BB0_2 Depth=1
	v_cvt_f32_u32_e32 v4, s20
	s_sub_i32 s22, 0, s20
	v_rcp_iflag_f32_e32 v4, v4
	v_mul_f32_e32 v4, 0x4f7ffffe, v4
	v_cvt_u32_f32_e32 v4, v4
	v_mul_lo_u32 v7, s22, v4
	v_mul_hi_u32 v7, v4, v7
	v_add_u32_e32 v4, v4, v7
	v_mul_hi_u32 v4, v5, v4
	v_mul_lo_u32 v7, v4, s20
	v_add_u32_e32 v8, 1, v4
	v_sub_u32_e32 v7, v5, v7
	v_subrev_u32_e32 v9, s20, v7
	v_cmp_le_u32_e32 vcc, s20, v7
	v_cndmask_b32_e32 v7, v7, v9, vcc
	v_cndmask_b32_e32 v4, v4, v8, vcc
	v_add_u32_e32 v8, 1, v4
	v_cmp_le_u32_e32 vcc, s20, v7
	v_cndmask_b32_e32 v7, v4, v8, vcc
	v_mov_b32_e32 v8, v3
.LBB0_6:                                ;   in Loop: Header=BB0_2 Depth=1
	s_or_b64 exec, exec, s[0:1]
	v_mul_lo_u32 v4, v8, s20
	v_mul_lo_u32 v11, v7, s21
	v_mad_u64_u32 v[9:10], s[0:1], v7, s20, 0
	s_load_dwordx2 s[0:1], s[6:7], 0x0
	s_add_u32 s18, s18, 1
	v_add3_u32 v4, v10, v11, v4
	v_sub_co_u32_e32 v5, vcc, v5, v9
	v_subb_co_u32_e32 v4, vcc, v6, v4, vcc
	s_waitcnt lgkmcnt(0)
	v_mul_lo_u32 v4, s0, v4
	v_mul_lo_u32 v6, s1, v5
	v_mad_u64_u32 v[1:2], s[0:1], s0, v5, v[1:2]
	s_addc_u32 s19, s19, 0
	s_add_u32 s6, s6, 8
	v_add3_u32 v2, v6, v2, v4
	v_mov_b32_e32 v4, s10
	v_mov_b32_e32 v5, s11
	s_addc_u32 s7, s7, 0
	v_cmp_ge_u64_e32 vcc, s[18:19], v[4:5]
	s_add_u32 s16, s16, 8
	s_addc_u32 s17, s17, 0
	s_cbranch_vccnz .LBB0_9
; %bb.7:                                ;   in Loop: Header=BB0_2 Depth=1
	v_mov_b32_e32 v5, v7
	v_mov_b32_e32 v6, v8
	s_branch .LBB0_2
.LBB0_8:
	v_mov_b32_e32 v8, v6
	v_mov_b32_e32 v7, v5
.LBB0_9:
	s_lshl_b64 s[0:1], s[10:11], 3
	s_add_u32 s0, s2, s0
	s_addc_u32 s1, s3, s1
	s_load_dwordx2 s[2:3], s[0:1], 0x0
	s_load_dwordx2 s[6:7], s[4:5], 0x20
                                        ; implicit-def: $sgpr4
                                        ; implicit-def: $sgpr5
                                        ; implicit-def: $vgpr31
                                        ; implicit-def: $vgpr32
	s_waitcnt lgkmcnt(0)
	v_mad_u64_u32 v[1:2], s[0:1], s2, v7, v[1:2]
	s_mov_b32 s0, 0x1681682
	v_mul_lo_u32 v3, s2, v8
	v_mul_lo_u32 v4, s3, v7
	v_mul_hi_u32 v5, v0, s0
	v_cmp_gt_u64_e32 vcc, s[6:7], v[7:8]
	v_cmp_le_u64_e64 s[0:1], s[6:7], v[7:8]
	v_add3_u32 v2, v4, v2, v3
	v_mul_u32_u24_e32 v3, 0xb6, v5
	v_sub_u32_e32 v30, v0, v3
	s_and_saveexec_b64 s[2:3], s[0:1]
	s_xor_b64 s[0:1], exec, s[2:3]
; %bb.10:
	v_add_u32_e32 v31, 0xb6, v30
	v_add_u32_e32 v32, 0x16c, v30
	s_mov_b32 s5, 0
	s_mov_b32 s4, 0
; %bb.11:
	s_or_saveexec_b64 s[2:3], s[0:1]
	v_lshlrev_b64 v[0:1], 3, v[1:2]
	v_mov_b32_e32 v26, s5
	v_mov_b32_e32 v29, s4
	;; [unrolled: 1-line block ×3, first 2 shown]
                                        ; implicit-def: $vgpr16
                                        ; implicit-def: $vgpr3
                                        ; implicit-def: $vgpr18
                                        ; implicit-def: $vgpr20
                                        ; implicit-def: $vgpr22
                                        ; implicit-def: $vgpr24
                                        ; implicit-def: $vgpr28
	s_xor_b64 exec, exec, s[2:3]
	s_cbranch_execz .LBB0_15
; %bb.12:
	v_mad_u64_u32 v[2:3], s[0:1], s12, v30, 0
	v_add_u32_e32 v8, 0x27d, v30
	v_mad_u64_u32 v[6:7], s[0:1], s12, v8, 0
	v_mad_u64_u32 v[3:4], s[0:1], s13, v30, v[3:4]
	v_mov_b32_e32 v5, s15
	v_add_co_u32_e64 v4, s[0:1], s14, v0
	v_addc_co_u32_e64 v5, s[0:1], v5, v1, s[0:1]
	v_mad_u64_u32 v[7:8], s[0:1], s13, v8, v[7:8]
	v_add_u32_e32 v31, 0xb6, v30
	v_mad_u64_u32 v[8:9], s[0:1], s12, v31, 0
	v_lshlrev_b64 v[2:3], 3, v[2:3]
	v_add_u32_e32 v32, 0x16c, v30
	v_add_co_u32_e64 v10, s[0:1], v4, v2
	v_addc_co_u32_e64 v11, s[0:1], v5, v3, s[0:1]
	v_lshlrev_b64 v[2:3], 3, v[6:7]
	v_mov_b32_e32 v6, v9
	v_mad_u64_u32 v[6:7], s[0:1], s13, v31, v[6:7]
	v_add_u32_e32 v7, 0x333, v30
	v_mad_u64_u32 v[12:13], s[0:1], s12, v7, 0
	v_add_co_u32_e64 v25, s[0:1], v4, v2
	v_mov_b32_e32 v9, v6
	v_mov_b32_e32 v6, v13
	v_addc_co_u32_e64 v26, s[0:1], v5, v3, s[0:1]
	v_mad_u64_u32 v[6:7], s[0:1], s13, v7, v[6:7]
	v_lshlrev_b64 v[2:3], 3, v[8:9]
	v_mad_u64_u32 v[7:8], s[0:1], s12, v32, 0
	v_add_co_u32_e64 v27, s[0:1], v4, v2
	v_mov_b32_e32 v13, v6
	v_mov_b32_e32 v6, v8
	v_addc_co_u32_e64 v28, s[0:1], v5, v3, s[0:1]
	v_mad_u64_u32 v[8:9], s[0:1], s13, v32, v[6:7]
	v_add_u32_e32 v9, 0x3e9, v30
	v_lshlrev_b64 v[2:3], 3, v[12:13]
	v_mad_u64_u32 v[12:13], s[0:1], s12, v9, 0
	v_add_co_u32_e64 v33, s[0:1], v4, v2
	v_mov_b32_e32 v6, v13
	v_addc_co_u32_e64 v34, s[0:1], v5, v3, s[0:1]
	v_lshlrev_b64 v[2:3], 3, v[7:8]
	v_mad_u64_u32 v[6:7], s[0:1], s13, v9, v[6:7]
	v_add_co_u32_e64 v7, s[0:1], v4, v2
	v_mov_b32_e32 v13, v6
	v_addc_co_u32_e64 v8, s[0:1], v5, v3, s[0:1]
	v_lshlrev_b64 v[2:3], 3, v[12:13]
	v_add_co_u32_e64 v12, s[0:1], v4, v2
	v_addc_co_u32_e64 v13, s[0:1], v5, v3, s[0:1]
	global_load_dwordx2 v[15:16], v[10:11], off
	global_load_dwordx2 v[2:3], v[25:26], off
	global_load_dwordx2 v[17:18], v[27:28], off
	global_load_dwordx2 v[19:20], v[33:34], off
	global_load_dwordx2 v[21:22], v[7:8], off
	global_load_dwordx2 v[23:24], v[12:13], off
	s_movk_i32 s0, 0x5b
	v_cmp_gt_u32_e64 s[0:1], s0, v30
	v_mov_b32_e32 v25, 0
	v_mov_b32_e32 v26, 0
                                        ; implicit-def: $vgpr27
	s_and_saveexec_b64 s[4:5], s[0:1]
	s_cbranch_execz .LBB0_14
; %bb.13:
	v_add_u32_e32 v10, 0x222, v30
	v_add_u32_e32 v12, 0x49f, v30
	v_mad_u64_u32 v[6:7], s[0:1], s12, v10, 0
	v_mad_u64_u32 v[8:9], s[0:1], s12, v12, 0
	;; [unrolled: 1-line block ×3, first 2 shown]
	v_mov_b32_e32 v7, v10
	v_mad_u64_u32 v[9:10], s[0:1], s13, v12, v[9:10]
	v_lshlrev_b64 v[6:7], 3, v[6:7]
	v_add_co_u32_e64 v6, s[0:1], v4, v6
	v_lshlrev_b64 v[8:9], 3, v[8:9]
	v_addc_co_u32_e64 v7, s[0:1], v5, v7, s[0:1]
	v_add_co_u32_e64 v4, s[0:1], v4, v8
	v_addc_co_u32_e64 v5, s[0:1], v5, v9, s[0:1]
	global_load_dwordx2 v[25:26], v[6:7], off
	global_load_dwordx2 v[27:28], v[4:5], off
.LBB0_14:
	s_or_b64 exec, exec, s[4:5]
	v_mov_b32_e32 v29, v30
.LBB0_15:
	s_or_b64 exec, exec, s[2:3]
	s_waitcnt vmcnt(4)
	v_sub_f32_e32 v5, v15, v2
	s_waitcnt vmcnt(2)
	v_sub_f32_e32 v7, v17, v19
	;; [unrolled: 2-line block ×3, first 2 shown]
	v_sub_f32_e32 v11, v25, v27
	s_movk_i32 s0, 0x5b
	v_add_u32_e32 v2, 0x222, v30
	v_fma_f32 v4, v15, 2.0, -v5
	v_fma_f32 v6, v17, 2.0, -v7
	;; [unrolled: 1-line block ×4, first 2 shown]
	v_lshl_add_u32 v33, v30, 3, 0
	v_lshl_add_u32 v23, v31, 3, 0
	;; [unrolled: 1-line block ×3, first 2 shown]
	v_cmp_gt_u32_e64 s[2:3], s0, v30
	v_lshl_add_u32 v25, v2, 3, 0
	ds_write_b64 v33, v[4:5]
	ds_write_b64 v23, v[6:7]
	;; [unrolled: 1-line block ×3, first 2 shown]
	s_and_saveexec_b64 s[0:1], s[2:3]
	s_cbranch_execz .LBB0_17
; %bb.16:
	ds_write_b64 v25, v[10:11]
.LBB0_17:
	s_or_b64 exec, exec, s[0:1]
	s_movk_i32 s0, 0x62
	v_cmp_gt_u32_e64 s[0:1], s0, v30
	v_lshlrev_b32_e32 v35, 2, v30
	s_waitcnt lgkmcnt(0)
	s_barrier
	s_waitcnt lgkmcnt(0)
                                        ; implicit-def: $vgpr27
                                        ; implicit-def: $vgpr15
                                        ; implicit-def: $vgpr13
	s_and_saveexec_b64 s[4:5], s[0:1]
	s_cbranch_execz .LBB0_19
; %bb.18:
	v_sub_u32_e32 v2, v33, v35
	v_add_u32_e32 v6, 0x200, v2
	v_add_u32_e32 v8, 0x400, v2
	;; [unrolled: 1-line block ×5, first 2 shown]
	ds_read2_b32 v[4:5], v2 offset1:98
	ds_read2_b32 v[6:7], v6 offset0:68 offset1:166
	ds_read2_b32 v[8:9], v8 offset0:136 offset1:234
	;; [unrolled: 1-line block ×5, first 2 shown]
	ds_read_b32 v27, v2 offset:4704
.LBB0_19:
	s_or_b64 exec, exec, s[4:5]
	v_sub_f32_e32 v3, v16, v3
	v_sub_f32_e32 v17, v18, v20
	;; [unrolled: 1-line block ×4, first 2 shown]
	v_fma_f32 v2, v16, 2.0, -v3
	v_fma_f32 v16, v18, 2.0, -v17
	;; [unrolled: 1-line block ×4, first 2 shown]
	s_waitcnt lgkmcnt(0)
	s_barrier
	ds_write_b64 v33, v[2:3]
	ds_write_b64 v23, v[16:17]
	;; [unrolled: 1-line block ×3, first 2 shown]
	s_and_saveexec_b64 s[4:5], s[2:3]
	s_cbranch_execz .LBB0_21
; %bb.20:
	ds_write_b64 v25, v[20:21]
.LBB0_21:
	s_or_b64 exec, exec, s[4:5]
	s_waitcnt lgkmcnt(0)
	s_barrier
	s_waitcnt lgkmcnt(0)
                                        ; implicit-def: $vgpr34
                                        ; implicit-def: $vgpr25
                                        ; implicit-def: $vgpr23
	s_and_saveexec_b64 s[2:3], s[0:1]
	s_cbranch_execz .LBB0_23
; %bb.22:
	v_sub_u32_e32 v26, v33, v35
	v_add_u32_e32 v16, 0x200, v26
	v_add_u32_e32 v18, 0x400, v26
	;; [unrolled: 1-line block ×5, first 2 shown]
	ds_read2_b32 v[2:3], v26 offset1:98
	ds_read2_b32 v[16:17], v16 offset0:68 offset1:166
	ds_read2_b32 v[18:19], v18 offset0:136 offset1:234
	;; [unrolled: 1-line block ×5, first 2 shown]
	ds_read_b32 v34, v26 offset:4704
.LBB0_23:
	s_or_b64 exec, exec, s[2:3]
	v_and_b32_e32 v26, 1, v30
	v_mul_u32_u24_e32 v28, 12, v26
	v_lshlrev_b32_e32 v28, 3, v28
	global_load_dwordx4 v[40:43], v28, s[8:9] offset:80
	global_load_dwordx4 v[44:47], v28, s[8:9] offset:64
	;; [unrolled: 1-line block ×5, first 2 shown]
	global_load_dwordx4 v[60:63], v28, s[8:9]
	s_waitcnt vmcnt(0) lgkmcnt(0)
	s_barrier
	v_mul_f32_e32 v38, v34, v43
	v_mul_f32_e32 v36, v27, v43
	;; [unrolled: 1-line block ×8, first 2 shown]
	v_fmac_f32_e32 v38, v27, v42
	v_mul_f32_e32 v27, v22, v51
	v_fma_f32 v39, v34, v42, -v36
	v_mul_f32_e32 v42, v12, v51
	v_fmac_f32_e32 v35, v15, v40
	v_fma_f32 v36, v25, v40, -v37
	v_mul_f32_e32 v15, v21, v49
	v_mul_f32_e32 v45, v11, v49
	;; [unrolled: 1-line block ×4, first 2 shown]
	v_fmac_f32_e32 v33, v14, v46
	v_mul_f32_e32 v14, v19, v53
	v_mul_f32_e32 v49, v9, v53
	v_fma_f32 v34, v24, v46, -v41
	v_mul_f32_e32 v24, v18, v59
	v_mul_f32_e32 v41, v8, v59
	v_fmac_f32_e32 v28, v13, v44
	v_fma_f32 v13, v23, v44, -v43
	v_mul_f32_e32 v23, v17, v57
	v_mul_f32_e32 v43, v7, v57
	v_mul_f32_e32 v37, v16, v63
	v_mul_f32_e32 v44, v6, v63
	v_mul_f32_e32 v40, v3, v61
	v_mul_f32_e32 v46, v5, v61
	v_fmac_f32_e32 v27, v12, v50
	v_fma_f32 v12, v22, v50, -v42
	v_fmac_f32_e32 v15, v11, v48
	v_fma_f32 v11, v21, v48, -v45
	;; [unrolled: 2-line block ×8, first 2 shown]
	v_lshrrev_b32_e32 v7, 1, v30
	s_and_saveexec_b64 s[2:3], s[0:1]
	s_cbranch_execz .LBB0_25
; %bb.24:
	v_sub_f32_e32 v6, v19, v39
	v_add_f32_e32 v5, v40, v38
	v_mul_f32_e32 v18, 0xbe750f2a, v6
	s_mov_b32 s4, 0xbf788fa5
	v_sub_f32_e32 v21, v16, v36
	v_fma_f32 v3, v5, s4, -v18
	v_add_f32_e32 v20, v37, v35
	v_mul_f32_e32 v22, 0x3eedf032, v21
	s_mov_b32 s6, 0x3f62ad3f
	v_add_f32_e32 v3, v4, v3
	v_fma_f32 v41, v20, s6, -v22
	v_sub_f32_e32 v42, v17, v34
	v_add_f32_e32 v3, v41, v3
	v_add_f32_e32 v41, v23, v33
	v_mul_f32_e32 v43, 0xbf29c268, v42
	s_mov_b32 s5, 0xbf3f9e67
	v_fma_f32 v44, v41, s5, -v43
	v_sub_f32_e32 v45, v8, v13
	v_fmac_f32_e32 v18, 0xbf788fa5, v5
	v_add_f32_e32 v3, v44, v3
	v_add_f32_e32 v44, v24, v28
	v_mul_f32_e32 v46, 0x3f52af12, v45
	s_mov_b32 s7, 0x3f116cb1
	v_add_f32_e32 v18, v4, v18
	v_fmac_f32_e32 v22, 0x3f62ad3f, v20
	v_fma_f32 v47, v44, s7, -v46
	v_sub_f32_e32 v48, v9, v12
	v_add_f32_e32 v18, v22, v18
	v_fmac_f32_e32 v43, 0xbf3f9e67, v41
	v_add_f32_e32 v3, v47, v3
	v_add_f32_e32 v47, v14, v27
	v_mul_f32_e32 v49, 0xbf6f5d39, v48
	s_mov_b32 s10, 0xbeb58ec6
	v_add_f32_e32 v18, v43, v18
	v_fmac_f32_e32 v46, 0x3f116cb1, v44
	v_mul_f32_e32 v22, 0xbf29c268, v6
	v_fma_f32 v50, v47, s10, -v49
	s_mov_b32 s11, 0x3df6dbef
	v_sub_f32_e32 v51, v10, v11
	v_add_f32_e32 v18, v46, v18
	v_fmac_f32_e32 v49, 0xbeb58ec6, v47
	v_fma_f32 v43, v5, s5, -v22
	v_mul_f32_e32 v46, 0x3f7e222b, v21
	v_add_f32_e32 v3, v50, v3
	v_add_f32_e32 v50, v25, v15
	v_mul_f32_e32 v52, 0x3f7e222b, v51
	v_add_f32_e32 v18, v49, v18
	v_add_f32_e32 v43, v4, v43
	v_fma_f32 v49, v20, s11, -v46
	v_fma_f32 v53, v50, s11, -v52
	v_fmac_f32_e32 v52, 0x3df6dbef, v50
	v_add_f32_e32 v43, v49, v43
	v_mul_f32_e32 v49, 0xbf52af12, v42
	v_add_f32_e32 v18, v52, v18
	v_fma_f32 v52, v41, s7, -v49
	v_fmac_f32_e32 v22, 0xbf3f9e67, v5
	v_add_f32_e32 v43, v52, v43
	v_mul_f32_e32 v52, 0x3e750f2a, v45
	v_add_f32_e32 v22, v4, v22
	v_fmac_f32_e32 v46, 0x3df6dbef, v20
	v_add_f32_e32 v3, v53, v3
	v_fma_f32 v53, v44, s4, -v52
	v_add_f32_e32 v22, v46, v22
	v_fmac_f32_e32 v49, 0x3f116cb1, v41
	v_add_f32_e32 v43, v53, v43
	v_mul_f32_e32 v53, 0x3eedf032, v48
	v_add_f32_e32 v22, v49, v22
	v_fmac_f32_e32 v52, 0xbf788fa5, v44
	v_mul_f32_e32 v46, 0xbf6f5d39, v6
	v_fma_f32 v54, v47, s6, -v53
	v_add_f32_e32 v22, v52, v22
	v_fmac_f32_e32 v53, 0x3f62ad3f, v47
	v_fma_f32 v49, v5, s10, -v46
	v_mul_f32_e32 v52, 0x3f29c268, v21
	v_add_f32_e32 v43, v54, v43
	v_mul_f32_e32 v54, 0xbf6f5d39, v51
	v_add_f32_e32 v22, v53, v22
	v_add_f32_e32 v49, v4, v49
	v_fma_f32 v53, v20, s5, -v52
	v_fma_f32 v55, v50, s10, -v54
	v_fmac_f32_e32 v54, 0xbeb58ec6, v50
	v_add_f32_e32 v49, v53, v49
	v_mul_f32_e32 v53, 0x3eedf032, v42
	v_add_f32_e32 v22, v54, v22
	v_fma_f32 v54, v41, s6, -v53
	v_fmac_f32_e32 v46, 0xbeb58ec6, v5
	v_add_f32_e32 v49, v54, v49
	v_mul_f32_e32 v54, 0xbf7e222b, v45
	v_add_f32_e32 v46, v4, v46
	v_fmac_f32_e32 v52, 0xbf3f9e67, v20
	v_add_f32_e32 v43, v55, v43
	v_fma_f32 v55, v44, s11, -v54
	v_add_f32_e32 v46, v52, v46
	v_fmac_f32_e32 v53, 0x3f62ad3f, v41
	v_add_f32_e32 v49, v55, v49
	v_mul_f32_e32 v55, 0x3e750f2a, v48
	v_add_f32_e32 v46, v53, v46
	v_fmac_f32_e32 v54, 0x3df6dbef, v44
	v_mul_f32_e32 v52, 0xbf7e222b, v6
	v_fma_f32 v56, v47, s4, -v55
	v_add_f32_e32 v46, v54, v46
	v_fmac_f32_e32 v55, 0xbf788fa5, v47
	v_fma_f32 v53, v5, s11, -v52
	v_mul_f32_e32 v54, 0xbe750f2a, v21
	;; [unrolled: 30-line block ×3, first 2 shown]
	v_fmac_f32_e32 v54, 0x3f116cb1, v5
	v_add_f32_e32 v52, v57, v52
	v_fma_f32 v57, v20, s10, -v56
	v_add_f32_e32 v54, v4, v54
	v_fmac_f32_e32 v56, 0xbeb58ec6, v20
	v_mul_f32_e32 v6, 0xbeedf032, v6
	v_add_f32_e32 v54, v56, v54
	v_fma_f32 v56, v5, s6, -v6
	v_fmac_f32_e32 v6, 0x3f62ad3f, v5
	v_add_f32_e32 v55, v4, v55
	v_add_f32_e32 v56, v4, v56
	;; [unrolled: 1-line block ×6, first 2 shown]
	v_mul_f32_e32 v58, 0xbf29c268, v51
	v_add_f32_e32 v4, v4, v23
	v_fma_f32 v59, v50, s5, -v58
	v_fmac_f32_e32 v58, 0xbf3f9e67, v50
	v_add_f32_e32 v55, v57, v55
	v_mul_f32_e32 v57, 0xbe750f2a, v42
	v_add_f32_e32 v4, v4, v24
	v_add_f32_e32 v52, v58, v52
	v_fma_f32 v58, v41, s4, -v57
	v_add_f32_e32 v4, v4, v14
	v_add_f32_e32 v55, v58, v55
	v_mul_f32_e32 v58, 0x3f29c268, v45
	v_fmac_f32_e32 v57, 0xbf788fa5, v41
	v_mul_f32_e32 v21, 0xbf52af12, v21
	v_add_f32_e32 v4, v4, v25
	v_add_f32_e32 v53, v59, v53
	v_fma_f32 v59, v44, s5, -v58
	v_add_f32_e32 v54, v57, v54
	v_fma_f32 v57, v20, s7, -v21
	v_mul_f32_e32 v42, 0xbf7e222b, v42
	v_fmac_f32_e32 v21, 0x3f116cb1, v20
	v_add_f32_e32 v4, v4, v15
	v_add_f32_e32 v55, v59, v55
	v_mul_f32_e32 v59, 0x3f7e222b, v48
	v_add_f32_e32 v56, v57, v56
	v_fma_f32 v57, v41, s11, -v42
	v_mul_f32_e32 v45, 0xbf6f5d39, v45
	v_add_f32_e32 v5, v21, v5
	v_fmac_f32_e32 v42, 0x3df6dbef, v41
	v_add_f32_e32 v4, v4, v27
	v_fma_f32 v60, v47, s11, -v59
	v_add_f32_e32 v56, v57, v56
	v_fma_f32 v57, v44, s10, -v45
	v_mul_f32_e32 v48, 0xbf29c268, v48
	v_add_f32_e32 v5, v42, v5
	v_fmac_f32_e32 v45, 0xbeb58ec6, v44
	v_add_f32_e32 v4, v4, v28
	v_add_f32_e32 v55, v60, v55
	v_mul_f32_e32 v60, 0x3eedf032, v51
	v_fmac_f32_e32 v58, 0xbf3f9e67, v44
	v_add_f32_e32 v56, v57, v56
	v_fma_f32 v57, v47, s5, -v48
	v_mul_f32_e32 v51, 0xbe750f2a, v51
	v_add_f32_e32 v5, v45, v5
	v_fmac_f32_e32 v48, 0xbf3f9e67, v47
	v_add_f32_e32 v4, v4, v33
	v_mul_u32_u24_e32 v6, 26, v7
	v_add_f32_e32 v54, v58, v54
	v_fmac_f32_e32 v59, 0x3df6dbef, v47
	v_add_f32_e32 v56, v57, v56
	v_fma_f32 v57, v50, s4, -v51
	v_add_f32_e32 v5, v48, v5
	v_fmac_f32_e32 v51, 0xbf788fa5, v50
	v_add_f32_e32 v4, v4, v35
	v_or_b32_e32 v6, v6, v26
	v_fma_f32 v61, v50, s6, -v60
	v_add_f32_e32 v54, v59, v54
	v_fmac_f32_e32 v60, 0x3f62ad3f, v50
	v_add_f32_e32 v5, v51, v5
	v_add_f32_e32 v4, v4, v38
	v_lshl_add_u32 v6, v6, 2, 0
	v_add_f32_e32 v55, v61, v55
	v_add_f32_e32 v54, v60, v54
	;; [unrolled: 1-line block ×3, first 2 shown]
	ds_write2_b32 v6, v4, v5 offset1:2
	ds_write2_b32 v6, v54, v52 offset0:4 offset1:6
	ds_write2_b32 v6, v46, v22 offset0:8 offset1:10
	ds_write2_b32 v6, v18, v3 offset0:12 offset1:14
	ds_write2_b32 v6, v43, v49 offset0:16 offset1:18
	ds_write2_b32 v6, v53, v55 offset0:20 offset1:22
	ds_write_b32 v6, v56 offset:96
.LBB0_25:
	s_or_b64 exec, exec, s[2:3]
	v_lshl_add_u32 v18, v30, 2, 0
	s_waitcnt lgkmcnt(0)
	s_barrier
	v_lshl_add_u32 v20, v31, 2, 0
	v_lshl_add_u32 v21, v32, 2, 0
	ds_read_b32 v32, v18
	ds_read_b32 v42, v20
	;; [unrolled: 1-line block ×3, first 2 shown]
	v_add_u32_e32 v22, 0x800, v18
	v_add_u32_e32 v31, 0xe00, v18
	ds_read2_b32 v[5:6], v22 offset0:34 offset1:216
	ds_read2_b32 v[3:4], v31 offset0:14 offset1:196
	s_waitcnt lgkmcnt(0)
	s_barrier
	s_and_saveexec_b64 s[2:3], s[0:1]
	s_cbranch_execz .LBB0_27
; %bb.26:
	v_add_f32_e32 v43, v2, v19
	v_add_f32_e32 v43, v43, v16
	;; [unrolled: 1-line block ×13, first 2 shown]
	v_mul_f32_e32 v39, 0x3f62ad3f, v19
	v_mul_f32_e32 v44, 0x3f116cb1, v19
	;; [unrolled: 1-line block ×6, first 2 shown]
	v_sub_f32_e32 v38, v40, v38
	v_mov_b32_e32 v40, v39
	v_mov_b32_e32 v45, v44
	;; [unrolled: 1-line block ×6, first 2 shown]
	v_fmac_f32_e32 v40, 0x3eedf032, v38
	v_fmac_f32_e32 v39, 0xbeedf032, v38
	;; [unrolled: 1-line block ×12, first 2 shown]
	v_add_f32_e32 v16, v16, v36
	v_add_f32_e32 v40, v2, v40
	;; [unrolled: 1-line block ×13, first 2 shown]
	v_sub_f32_e32 v19, v37, v35
	v_mul_f32_e32 v35, 0x3f116cb1, v16
	v_mov_b32_e32 v36, v35
	v_fmac_f32_e32 v35, 0xbf52af12, v19
	v_mul_f32_e32 v37, 0xbeb58ec6, v16
	v_fmac_f32_e32 v36, 0x3f52af12, v19
	v_add_f32_e32 v35, v35, v39
	v_mov_b32_e32 v38, v37
	v_fmac_f32_e32 v37, 0xbf6f5d39, v19
	v_mul_f32_e32 v39, 0xbf788fa5, v16
	v_add_f32_e32 v36, v36, v40
	v_fmac_f32_e32 v38, 0x3f6f5d39, v19
	v_add_f32_e32 v37, v37, v44
	v_mov_b32_e32 v40, v39
	v_fmac_f32_e32 v39, 0xbe750f2a, v19
	v_mul_f32_e32 v44, 0xbf3f9e67, v16
	v_add_f32_e32 v38, v38, v45
	v_add_f32_e32 v39, v39, v46
	v_mov_b32_e32 v45, v44
	v_fmac_f32_e32 v44, 0x3f29c268, v19
	v_mul_f32_e32 v46, 0x3df6dbef, v16
	v_mul_f32_e32 v16, 0x3f62ad3f, v16
	v_fmac_f32_e32 v40, 0x3e750f2a, v19
	v_add_f32_e32 v44, v44, v48
	v_mov_b32_e32 v48, v16
	v_fmac_f32_e32 v16, 0x3eedf032, v19
	v_add_f32_e32 v40, v40, v47
	v_mov_b32_e32 v47, v46
	v_add_f32_e32 v2, v16, v2
	v_add_f32_e32 v16, v17, v34
	v_fmac_f32_e32 v45, 0xbf29c268, v19
	v_fmac_f32_e32 v47, 0xbf7e222b, v19
	;; [unrolled: 1-line block ×4, first 2 shown]
	v_sub_f32_e32 v17, v23, v33
	v_mul_f32_e32 v19, 0x3df6dbef, v16
	v_mov_b32_e32 v23, v19
	v_fmac_f32_e32 v19, 0xbf7e222b, v17
	v_mul_f32_e32 v33, 0xbf788fa5, v16
	v_fmac_f32_e32 v23, 0x3f7e222b, v17
	v_add_f32_e32 v19, v19, v35
	v_mov_b32_e32 v34, v33
	v_fmac_f32_e32 v33, 0xbe750f2a, v17
	v_mul_f32_e32 v35, 0xbeb58ec6, v16
	v_add_f32_e32 v23, v23, v36
	v_fmac_f32_e32 v34, 0x3e750f2a, v17
	v_add_f32_e32 v33, v33, v37
	v_mov_b32_e32 v36, v35
	v_fmac_f32_e32 v35, 0x3f6f5d39, v17
	v_mul_f32_e32 v37, 0x3f62ad3f, v16
	v_add_f32_e32 v34, v34, v38
	v_add_f32_e32 v35, v35, v39
	v_mov_b32_e32 v38, v37
	v_fmac_f32_e32 v37, 0x3eedf032, v17
	v_mul_f32_e32 v39, 0x3f116cb1, v16
	v_mul_f32_e32 v16, 0xbf3f9e67, v16
	v_fmac_f32_e32 v36, 0xbf6f5d39, v17
	v_add_f32_e32 v37, v37, v44
	v_mov_b32_e32 v44, v16
	v_fmac_f32_e32 v16, 0xbf29c268, v17
	v_add_f32_e32 v8, v8, v13
	v_add_f32_e32 v36, v36, v40
	v_mov_b32_e32 v40, v39
	v_add_f32_e32 v2, v16, v2
	v_sub_f32_e32 v13, v24, v28
	v_mul_f32_e32 v16, 0xbeb58ec6, v8
	v_fmac_f32_e32 v38, 0xbeedf032, v17
	v_fmac_f32_e32 v40, 0x3f52af12, v17
	;; [unrolled: 1-line block ×4, first 2 shown]
	v_mov_b32_e32 v17, v16
	v_fmac_f32_e32 v16, 0xbf6f5d39, v13
	v_fmac_f32_e32 v17, 0x3f6f5d39, v13
	v_add_f32_e32 v16, v16, v19
	v_mul_f32_e32 v19, 0xbf3f9e67, v8
	v_add_f32_e32 v17, v17, v23
	v_mov_b32_e32 v23, v19
	v_fmac_f32_e32 v19, 0x3f29c268, v13
	v_mul_f32_e32 v24, 0x3f62ad3f, v8
	v_fmac_f32_e32 v23, 0xbf29c268, v13
	v_add_f32_e32 v19, v19, v33
	v_mov_b32_e32 v28, v24
	v_fmac_f32_e32 v24, 0x3eedf032, v13
	v_mul_f32_e32 v33, 0x3df6dbef, v8
	v_add_f32_e32 v23, v23, v34
	v_add_f32_e32 v24, v24, v35
	v_mov_b32_e32 v34, v33
	v_fmac_f32_e32 v33, 0xbf7e222b, v13
	v_mul_f32_e32 v35, 0xbf788fa5, v8
	v_mul_f32_e32 v8, 0x3f116cb1, v8
	v_add_f32_e32 v33, v33, v37
	v_mov_b32_e32 v37, v8
	v_fmac_f32_e32 v8, 0x3f52af12, v13
	v_fmac_f32_e32 v28, 0xbeedf032, v13
	v_add_f32_e32 v2, v8, v2
	v_add_f32_e32 v8, v9, v12
	;; [unrolled: 1-line block ×3, first 2 shown]
	v_mov_b32_e32 v36, v35
	v_sub_f32_e32 v9, v14, v27
	v_mul_f32_e32 v12, 0xbf3f9e67, v8
	v_fmac_f32_e32 v34, 0x3f7e222b, v13
	v_fmac_f32_e32 v36, 0xbe750f2a, v13
	v_fmac_f32_e32 v35, 0x3e750f2a, v13
	v_fmac_f32_e32 v37, 0xbf52af12, v13
	v_mov_b32_e32 v13, v12
	v_fmac_f32_e32 v12, 0xbf29c268, v9
	v_mul_f32_e32 v14, 0x3df6dbef, v8
	v_fmac_f32_e32 v13, 0x3f29c268, v9
	v_add_f32_e32 v12, v12, v16
	v_mov_b32_e32 v16, v14
	v_add_f32_e32 v13, v13, v17
	v_fmac_f32_e32 v16, 0xbf7e222b, v9
	v_fmac_f32_e32 v14, 0x3f7e222b, v9
	v_mul_f32_e32 v17, 0x3f116cb1, v8
	v_add_f32_e32 v16, v16, v23
	v_add_f32_e32 v14, v14, v19
	v_mov_b32_e32 v19, v17
	v_fmac_f32_e32 v17, 0xbf52af12, v9
	v_mul_f32_e32 v23, 0xbf788fa5, v8
	v_add_f32_e32 v17, v17, v24
	v_mov_b32_e32 v24, v23
	v_fmac_f32_e32 v23, 0x3e750f2a, v9
	v_mul_f32_e32 v27, 0x3f62ad3f, v8
	v_mul_f32_e32 v8, 0xbeb58ec6, v8
	v_fmac_f32_e32 v19, 0x3f52af12, v9
	v_add_f32_e32 v23, v23, v33
	v_mov_b32_e32 v33, v8
	v_fmac_f32_e32 v8, 0xbf6f5d39, v9
	v_add_f32_e32 v19, v19, v28
	v_mov_b32_e32 v28, v27
	v_add_f32_e32 v2, v8, v2
	v_add_f32_e32 v8, v10, v11
	v_fmac_f32_e32 v24, 0xbe750f2a, v9
	v_fmac_f32_e32 v28, 0xbeedf032, v9
	;; [unrolled: 1-line block ×4, first 2 shown]
	v_sub_f32_e32 v9, v25, v15
	v_mul_f32_e32 v10, 0xbf788fa5, v8
	v_mov_b32_e32 v11, v10
	v_fmac_f32_e32 v10, 0xbe750f2a, v9
	v_fmac_f32_e32 v11, 0x3e750f2a, v9
	v_add_f32_e32 v10, v10, v12
	v_mul_f32_e32 v12, 0x3f62ad3f, v8
	v_add_f32_e32 v11, v11, v13
	v_mov_b32_e32 v13, v12
	v_fmac_f32_e32 v12, 0x3eedf032, v9
	v_add_f32_e32 v45, v45, v49
	v_fmac_f32_e32 v13, 0xbeedf032, v9
	v_add_f32_e32 v12, v12, v14
	v_mul_f32_e32 v14, 0xbf3f9e67, v8
	v_add_f32_e32 v38, v38, v45
	v_add_f32_e32 v13, v13, v16
	v_mov_b32_e32 v15, v14
	v_fmac_f32_e32 v14, 0xbf29c268, v9
	v_mul_f32_e32 v16, 0x3f116cb1, v8
	v_add_f32_e32 v47, v47, v51
	v_add_f32_e32 v46, v46, v50
	;; [unrolled: 1-line block ×4, first 2 shown]
	v_fmac_f32_e32 v15, 0x3f29c268, v9
	v_add_f32_e32 v14, v14, v17
	v_mov_b32_e32 v17, v16
	v_add_f32_e32 v40, v40, v47
	v_add_f32_e32 v39, v39, v46
	;; [unrolled: 1-line block ×5, first 2 shown]
	v_fmac_f32_e32 v17, 0xbf52af12, v9
	v_fmac_f32_e32 v16, 0x3f52af12, v9
	v_mul_f32_e32 v19, 0xbeb58ec6, v8
	v_mul_f32_e32 v8, 0x3df6dbef, v8
	v_mul_u32_u24_e32 v7, 26, v7
	v_add_f32_e32 v36, v36, v40
	v_add_f32_e32 v35, v35, v39
	;; [unrolled: 1-line block ×5, first 2 shown]
	v_mov_b32_e32 v23, v19
	v_mov_b32_e32 v24, v8
	v_or_b32_e32 v7, v7, v26
	v_add_f32_e32 v28, v28, v36
	v_add_f32_e32 v27, v27, v35
	;; [unrolled: 1-line block ×3, first 2 shown]
	v_fmac_f32_e32 v23, 0x3f6f5d39, v9
	v_fmac_f32_e32 v19, 0xbf6f5d39, v9
	;; [unrolled: 1-line block ×4, first 2 shown]
	v_lshl_add_u32 v7, v7, 2, 0
	v_add_f32_e32 v23, v23, v28
	v_add_f32_e32 v19, v19, v27
	;; [unrolled: 1-line block ×4, first 2 shown]
	ds_write2_b32 v7, v43, v11 offset1:2
	ds_write2_b32 v7, v13, v15 offset0:4 offset1:6
	ds_write2_b32 v7, v17, v23 offset0:8 offset1:10
	;; [unrolled: 1-line block ×5, first 2 shown]
	ds_write_b32 v7, v10 offset:96
.LBB0_27:
	s_or_b64 exec, exec, s[2:3]
	s_movk_i32 s0, 0x4f
	v_mul_lo_u16_sdwa v2, v30, s0 dst_sel:DWORD dst_unused:UNUSED_PAD src0_sel:BYTE_0 src1_sel:DWORD
	v_lshrrev_b16_e32 v2, 11, v2
	v_mul_lo_u16_e32 v7, 26, v2
	v_sub_u16_e32 v17, v30, v7
	v_mov_b32_e32 v7, 6
	v_mul_u32_u24_sdwa v7, v17, v7 dst_sel:DWORD dst_unused:UNUSED_PAD src0_sel:BYTE_0 src1_sel:DWORD
	v_lshlrev_b32_e32 v15, 3, v7
	s_waitcnt lgkmcnt(0)
	s_barrier
	global_load_dwordx4 v[7:10], v15, s[8:9] offset:192
	global_load_dwordx4 v[11:14], v15, s[8:9] offset:208
	;; [unrolled: 1-line block ×3, first 2 shown]
	ds_read_b32 v19, v18
	ds_read_b32 v33, v20
	ds_read_b32 v34, v21
	ds_read2_b32 v[15:16], v22 offset0:34 offset1:216
	ds_read2_b32 v[27:28], v31 offset0:14 offset1:196
	s_mov_b32 s0, 0xbf5ff5aa
	s_mov_b32 s1, 0x3f3bfb3b
	;; [unrolled: 1-line block ×4, first 2 shown]
	v_mul_u32_u24_e32 v2, 0x2d8, v2
	s_waitcnt vmcnt(0) lgkmcnt(0)
	s_barrier
	v_mul_f32_e32 v35, v33, v8
	v_mul_f32_e32 v8, v42, v8
	;; [unrolled: 1-line block ×12, first 2 shown]
	v_fmac_f32_e32 v35, v42, v7
	v_fma_f32 v7, v33, v7, -v8
	v_fmac_f32_e32 v36, v41, v9
	v_fma_f32 v8, v34, v9, -v10
	;; [unrolled: 2-line block ×6, first 2 shown]
	v_add_f32_e32 v9, v35, v40
	v_add_f32_e32 v10, v7, v4
	v_sub_f32_e32 v4, v7, v4
	v_add_f32_e32 v7, v36, v39
	v_add_f32_e32 v12, v8, v3
	v_sub_f32_e32 v3, v8, v3
	;; [unrolled: 3-line block ×4, first 2 shown]
	v_sub_f32_e32 v15, v38, v37
	v_sub_f32_e32 v23, v7, v9
	;; [unrolled: 1-line block ×4, first 2 shown]
	v_add_f32_e32 v6, v8, v6
	v_add_f32_e32 v8, v14, v16
	v_sub_f32_e32 v11, v35, v40
	v_sub_f32_e32 v24, v12, v10
	;; [unrolled: 1-line block ×3, first 2 shown]
	v_add_f32_e32 v25, v15, v13
	v_add_f32_e32 v26, v5, v3
	v_sub_f32_e32 v27, v15, v13
	v_sub_f32_e32 v28, v5, v3
	v_add_f32_e32 v32, v32, v6
	v_add_f32_e32 v19, v19, v8
	v_sub_f32_e32 v10, v10, v14
	v_sub_f32_e32 v15, v11, v15
	;; [unrolled: 1-line block ×5, first 2 shown]
	v_add_f32_e32 v11, v25, v11
	v_add_f32_e32 v4, v26, v4
	v_mul_f32_e32 v9, 0x3f4a47b2, v9
	v_mul_f32_e32 v14, 0x3d64c772, v7
	;; [unrolled: 1-line block ×5, first 2 shown]
	v_mov_b32_e32 v33, v32
	v_mov_b32_e32 v34, v19
	v_mul_f32_e32 v10, 0x3f4a47b2, v10
	v_mul_f32_e32 v28, 0xbf5ff5aa, v3
	v_fma_f32 v14, v23, s1, -v14
	v_fma_f32 v16, v24, s1, -v16
	;; [unrolled: 1-line block ×3, first 2 shown]
	v_fmac_f32_e32 v33, 0xbf955555, v6
	v_fmac_f32_e32 v34, 0xbf955555, v8
	;; [unrolled: 1-line block ×3, first 2 shown]
	v_fma_f32 v7, v13, s0, -v25
	v_fma_f32 v3, v3, s0, -v26
	v_mul_f32_e32 v27, 0xbf5ff5aa, v13
	v_fma_f32 v6, v24, s2, -v10
	v_fmac_f32_e32 v10, 0x3d64c772, v12
	v_add_f32_e32 v12, v14, v33
	v_add_f32_e32 v13, v16, v34
	v_fmac_f32_e32 v7, 0xbee1c552, v11
	v_fmac_f32_e32 v3, 0xbee1c552, v4
	;; [unrolled: 1-line block ×4, first 2 shown]
	v_fma_f32 v8, v15, s3, -v27
	v_fma_f32 v5, v5, s3, -v28
	v_add_f32_e32 v14, v23, v33
	v_sub_f32_e32 v23, v12, v3
	v_add_f32_e32 v24, v7, v13
	v_add_f32_e32 v3, v3, v12
	v_sub_f32_e32 v12, v13, v7
	v_mov_b32_e32 v7, 2
	v_add_f32_e32 v9, v9, v33
	v_add_f32_e32 v10, v10, v34
	;; [unrolled: 1-line block ×3, first 2 shown]
	v_fmac_f32_e32 v25, 0xbee1c552, v11
	v_fmac_f32_e32 v26, 0xbee1c552, v4
	;; [unrolled: 1-line block ×4, first 2 shown]
	v_lshlrev_b32_sdwa v7, v7, v17 dst_sel:DWORD dst_unused:UNUSED_PAD src0_sel:DWORD src1_sel:BYTE_0
	v_add_f32_e32 v4, v26, v9
	v_sub_f32_e32 v11, v10, v25
	v_add_f32_e32 v15, v5, v14
	v_sub_f32_e32 v16, v6, v8
	v_sub_f32_e32 v5, v14, v5
	v_add_f32_e32 v13, v8, v6
	v_sub_f32_e32 v6, v9, v26
	v_add_f32_e32 v9, v25, v10
	v_add3_u32 v10, 0, v2, v7
	ds_write2_b32 v10, v32, v4 offset1:26
	ds_write2_b32 v10, v15, v23 offset0:52 offset1:78
	ds_write2_b32 v10, v3, v5 offset0:104 offset1:130
	ds_write_b32 v10, v6 offset:624
	s_waitcnt lgkmcnt(0)
	s_barrier
	ds_read_b32 v6, v18
	ds_read_b32 v8, v20
	;; [unrolled: 1-line block ×3, first 2 shown]
	ds_read2_b32 v[2:3], v22 offset0:34 offset1:216
	ds_read2_b32 v[4:5], v31 offset0:14 offset1:196
	s_waitcnt lgkmcnt(0)
	s_barrier
	ds_write2_b32 v10, v19, v11 offset1:26
	ds_write2_b32 v10, v16, v24 offset0:52 offset1:78
	ds_write2_b32 v10, v12, v13 offset0:104 offset1:130
	ds_write_b32 v10, v9 offset:624
	s_waitcnt lgkmcnt(0)
	s_barrier
	s_and_saveexec_b64 s[4:5], vcc
	s_cbranch_execz .LBB0_29
; %bb.28:
	v_mul_u32_u24_e32 v9, 6, v30
	v_lshlrev_b32_e32 v17, 3, v9
	global_load_dwordx4 v[9:12], v17, s[8:9] offset:1440
	global_load_dwordx4 v[13:16], v17, s[8:9] offset:1472
	;; [unrolled: 1-line block ×3, first 2 shown]
	v_add_u32_e32 v17, 0xe00, v18
	v_add_u32_e32 v19, 0x800, v18
	ds_read_b32 v21, v21
	ds_read_b32 v26, v20
	;; [unrolled: 1-line block ×3, first 2 shown]
	ds_read2_b32 v[17:18], v17 offset0:14 offset1:196
	ds_read2_b32 v[19:20], v19 offset0:34 offset1:216
	s_waitcnt vmcnt(2)
	v_mul_f32_e32 v28, v8, v9
	s_waitcnt vmcnt(1)
	v_mul_f32_e32 v30, v5, v15
	;; [unrolled: 2-line block ×3, first 2 shown]
	v_mul_f32_e32 v32, v2, v22
	v_mul_f32_e32 v33, v7, v11
	v_mul_f32_e32 v34, v4, v13
	v_mul_f32_e32 v5, v5, v16
	v_mul_f32_e32 v8, v8, v10
	v_mul_f32_e32 v4, v4, v14
	v_mul_f32_e32 v7, v7, v12
	v_mul_f32_e32 v2, v2, v23
	v_mul_f32_e32 v3, v3, v25
	s_waitcnt lgkmcnt(0)
	v_fmac_f32_e32 v31, v20, v25
	v_fmac_f32_e32 v32, v19, v23
	;; [unrolled: 1-line block ×4, first 2 shown]
	v_fma_f32 v5, v18, v15, -v5
	v_fma_f32 v8, v26, v9, -v8
	;; [unrolled: 1-line block ×4, first 2 shown]
	v_fmac_f32_e32 v28, v26, v10
	v_fmac_f32_e32 v30, v18, v16
	v_fma_f32 v2, v19, v22, -v2
	v_fma_f32 v3, v20, v24, -v3
	v_sub_f32_e32 v10, v31, v32
	v_sub_f32_e32 v11, v33, v34
	v_add_f32_e32 v12, v8, v5
	v_add_f32_e32 v14, v7, v4
	v_sub_f32_e32 v9, v28, v30
	v_add_f32_e32 v13, v3, v2
	v_add_f32_e32 v15, v28, v30
	;; [unrolled: 1-line block ×4, first 2 shown]
	v_sub_f32_e32 v18, v7, v4
	v_add_f32_e32 v4, v10, v11
	v_add_f32_e32 v19, v12, v14
	v_sub_f32_e32 v8, v8, v5
	v_sub_f32_e32 v2, v3, v2
	;; [unrolled: 1-line block ×5, first 2 shown]
	v_add_f32_e32 v22, v15, v17
	v_sub_f32_e32 v11, v11, v9
	v_add_f32_e32 v9, v9, v4
	v_add_f32_e32 v4, v13, v19
	v_sub_f32_e32 v5, v12, v13
	v_sub_f32_e32 v20, v15, v16
	;; [unrolled: 1-line block ×4, first 2 shown]
	v_add_f32_e32 v2, v2, v18
	v_mul_f32_e32 v25, 0x3f08b237, v3
	v_mul_f32_e32 v19, 0x3d64c772, v21
	v_add_f32_e32 v16, v16, v22
	v_add_f32_e32 v3, v27, v4
	v_sub_f32_e32 v10, v13, v14
	v_mul_f32_e32 v26, 0x3f4a47b2, v5
	v_add_f32_e32 v22, v8, v2
	v_mov_b32_e32 v27, v19
	v_add_f32_e32 v2, v6, v16
	v_mov_b32_e32 v32, v3
	v_sub_f32_e32 v12, v14, v12
	v_mul_f32_e32 v10, 0x3d64c772, v10
	v_mul_f32_e32 v13, 0x3f4a47b2, v20
	v_fmac_f32_e32 v27, 0x3f4a47b2, v20
	v_mov_b32_e32 v20, v2
	v_fmac_f32_e32 v32, 0xbf955555, v4
	v_fma_f32 v6, v12, s2, -v26
	v_sub_f32_e32 v15, v17, v15
	v_mul_f32_e32 v21, 0x3f08b237, v24
	v_mul_f32_e32 v24, 0xbf5ff5aa, v11
	v_mov_b32_e32 v30, v10
	v_fmac_f32_e32 v20, 0xbf955555, v16
	v_add_f32_e32 v14, v6, v32
	v_fma_f32 v6, v15, s2, -v13
	v_sub_f32_e32 v8, v18, v8
	v_fma_f32 v10, v12, s1, -v10
	v_fma_f32 v16, v7, s3, -v24
	v_add_f32_e32 v24, v6, v20
	v_mul_f32_e32 v6, 0xbf5ff5aa, v8
	v_add_f32_e32 v12, v10, v32
	v_fma_f32 v13, v11, s0, -v25
	v_fma_f32 v17, v8, s0, -v21
	;; [unrolled: 1-line block ×3, first 2 shown]
	v_mad_u64_u32 v[10:11], s[0:1], s12, v29, 0
	v_mov_b32_e32 v28, v25
	v_fmac_f32_e32 v28, 0xbeae86e6, v7
	v_fmac_f32_e32 v13, 0xbee1c552, v9
	;; [unrolled: 1-line block ×3, first 2 shown]
	v_add_f32_e32 v15, v8, v20
	v_fmac_f32_e32 v28, 0xbee1c552, v9
	v_fmac_f32_e32 v16, 0xbee1c552, v9
	v_sub_f32_e32 v9, v12, v13
	v_add_f32_e32 v13, v13, v12
	v_sub_f32_e32 v12, v15, v17
	v_add_f32_e32 v7, v16, v14
	v_add_f32_e32 v8, v17, v15
	v_sub_f32_e32 v15, v14, v16
	v_mad_u64_u32 v[16:17], s[0:1], s13, v29, v[11:12]
	v_mov_b32_e32 v31, v21
	v_fmac_f32_e32 v31, 0xbeae86e6, v23
	v_fma_f32 v18, v23, s3, -v6
	v_fmac_f32_e32 v31, 0xbee1c552, v22
	v_fmac_f32_e32 v18, 0xbee1c552, v22
	v_mov_b32_e32 v11, v16
	v_mov_b32_e32 v16, s15
	v_add_co_u32_e32 v22, vcc, s14, v0
	v_addc_co_u32_e32 v23, vcc, v16, v1, vcc
	v_add_u32_e32 v16, 0xb6, v29
	v_lshlrev_b64 v[0:1], 3, v[10:11]
	v_mad_u64_u32 v[10:11], s[0:1], s12, v16, 0
	v_add_f32_e32 v27, v27, v20
	v_add_co_u32_e32 v0, vcc, v22, v0
	v_mad_u64_u32 v[19:20], s[0:1], s13, v16, v[11:12]
	v_add_u32_e32 v16, 0x16c, v29
	v_mad_u64_u32 v[20:21], s[0:1], s12, v16, 0
	v_addc_co_u32_e32 v1, vcc, v23, v1, vcc
	global_store_dwordx2 v[0:1], v[2:3], off
	v_mov_b32_e32 v2, v21
	v_mad_u64_u32 v[2:3], s[0:1], s13, v16, v[2:3]
	v_mov_b32_e32 v11, v19
	v_lshlrev_b64 v[0:1], 3, v[10:11]
	v_add_u32_e32 v10, 0x222, v29
	v_mov_b32_e32 v21, v2
	v_mad_u64_u32 v[2:3], s[0:1], s12, v10, 0
	v_fmac_f32_e32 v30, 0x3f4a47b2, v5
	v_sub_f32_e32 v4, v27, v31
	v_add_f32_e32 v30, v30, v32
	v_add_co_u32_e32 v0, vcc, v22, v0
	v_mad_u64_u32 v[10:11], s[0:1], s13, v10, v[3:4]
	v_sub_f32_e32 v6, v24, v18
	v_add_f32_e32 v14, v18, v24
	v_sub_f32_e32 v18, v30, v28
	v_add_f32_e32 v17, v31, v27
	v_addc_co_u32_e32 v1, vcc, v23, v1, vcc
	v_add_u32_e32 v11, 0x2d8, v29
	global_store_dwordx2 v[0:1], v[17:18], off
	v_lshlrev_b64 v[0:1], 3, v[20:21]
	v_mad_u64_u32 v[16:17], s[0:1], s12, v11, 0
	v_add_co_u32_e32 v0, vcc, v22, v0
	v_addc_co_u32_e32 v1, vcc, v23, v1, vcc
	v_mov_b32_e32 v3, v10
	global_store_dwordx2 v[0:1], v[14:15], off
	v_lshlrev_b64 v[0:1], 3, v[2:3]
	v_mov_b32_e32 v2, v17
	v_mad_u64_u32 v[2:3], s[0:1], s13, v11, v[2:3]
	v_add_u32_e32 v10, 0x38e, v29
	v_add_co_u32_e32 v0, vcc, v22, v0
	v_mov_b32_e32 v17, v2
	v_mad_u64_u32 v[2:3], s[0:1], s12, v10, 0
	v_addc_co_u32_e32 v1, vcc, v23, v1, vcc
	global_store_dwordx2 v[0:1], v[12:13], off
	v_mad_u64_u32 v[10:11], s[0:1], s13, v10, v[3:4]
	v_add_u32_e32 v13, 0x444, v29
	v_lshlrev_b64 v[0:1], 3, v[16:17]
	v_mad_u64_u32 v[11:12], s[0:1], s12, v13, 0
	v_add_co_u32_e32 v0, vcc, v22, v0
	v_addc_co_u32_e32 v1, vcc, v23, v1, vcc
	v_mov_b32_e32 v3, v10
	global_store_dwordx2 v[0:1], v[8:9], off
	v_lshlrev_b64 v[0:1], 3, v[2:3]
	v_mov_b32_e32 v2, v12
	v_mad_u64_u32 v[2:3], s[0:1], s13, v13, v[2:3]
	v_add_co_u32_e32 v0, vcc, v22, v0
	v_addc_co_u32_e32 v1, vcc, v23, v1, vcc
	v_mov_b32_e32 v12, v2
	global_store_dwordx2 v[0:1], v[6:7], off
	v_lshlrev_b64 v[0:1], 3, v[11:12]
	v_add_f32_e32 v5, v28, v30
	v_add_co_u32_e32 v0, vcc, v22, v0
	v_addc_co_u32_e32 v1, vcc, v23, v1, vcc
	global_store_dwordx2 v[0:1], v[4:5], off
.LBB0_29:
	s_endpgm
	.section	.rodata,"a",@progbits
	.p2align	6, 0x0
	.amdhsa_kernel fft_rtc_back_len1274_factors_2_13_7_7_wgs_182_tpt_182_halfLds_sp_ip_CI_sbrr_dirReg
		.amdhsa_group_segment_fixed_size 0
		.amdhsa_private_segment_fixed_size 0
		.amdhsa_kernarg_size 88
		.amdhsa_user_sgpr_count 6
		.amdhsa_user_sgpr_private_segment_buffer 1
		.amdhsa_user_sgpr_dispatch_ptr 0
		.amdhsa_user_sgpr_queue_ptr 0
		.amdhsa_user_sgpr_kernarg_segment_ptr 1
		.amdhsa_user_sgpr_dispatch_id 0
		.amdhsa_user_sgpr_flat_scratch_init 0
		.amdhsa_user_sgpr_private_segment_size 0
		.amdhsa_uses_dynamic_stack 0
		.amdhsa_system_sgpr_private_segment_wavefront_offset 0
		.amdhsa_system_sgpr_workgroup_id_x 1
		.amdhsa_system_sgpr_workgroup_id_y 0
		.amdhsa_system_sgpr_workgroup_id_z 0
		.amdhsa_system_sgpr_workgroup_info 0
		.amdhsa_system_vgpr_workitem_id 0
		.amdhsa_next_free_vgpr 64
		.amdhsa_next_free_sgpr 24
		.amdhsa_reserve_vcc 1
		.amdhsa_reserve_flat_scratch 0
		.amdhsa_float_round_mode_32 0
		.amdhsa_float_round_mode_16_64 0
		.amdhsa_float_denorm_mode_32 3
		.amdhsa_float_denorm_mode_16_64 3
		.amdhsa_dx10_clamp 1
		.amdhsa_ieee_mode 1
		.amdhsa_fp16_overflow 0
		.amdhsa_exception_fp_ieee_invalid_op 0
		.amdhsa_exception_fp_denorm_src 0
		.amdhsa_exception_fp_ieee_div_zero 0
		.amdhsa_exception_fp_ieee_overflow 0
		.amdhsa_exception_fp_ieee_underflow 0
		.amdhsa_exception_fp_ieee_inexact 0
		.amdhsa_exception_int_div_zero 0
	.end_amdhsa_kernel
	.text
.Lfunc_end0:
	.size	fft_rtc_back_len1274_factors_2_13_7_7_wgs_182_tpt_182_halfLds_sp_ip_CI_sbrr_dirReg, .Lfunc_end0-fft_rtc_back_len1274_factors_2_13_7_7_wgs_182_tpt_182_halfLds_sp_ip_CI_sbrr_dirReg
                                        ; -- End function
	.section	.AMDGPU.csdata,"",@progbits
; Kernel info:
; codeLenInByte = 7444
; NumSgprs: 28
; NumVgprs: 64
; ScratchSize: 0
; MemoryBound: 0
; FloatMode: 240
; IeeeMode: 1
; LDSByteSize: 0 bytes/workgroup (compile time only)
; SGPRBlocks: 3
; VGPRBlocks: 15
; NumSGPRsForWavesPerEU: 28
; NumVGPRsForWavesPerEU: 64
; Occupancy: 4
; WaveLimiterHint : 1
; COMPUTE_PGM_RSRC2:SCRATCH_EN: 0
; COMPUTE_PGM_RSRC2:USER_SGPR: 6
; COMPUTE_PGM_RSRC2:TRAP_HANDLER: 0
; COMPUTE_PGM_RSRC2:TGID_X_EN: 1
; COMPUTE_PGM_RSRC2:TGID_Y_EN: 0
; COMPUTE_PGM_RSRC2:TGID_Z_EN: 0
; COMPUTE_PGM_RSRC2:TIDIG_COMP_CNT: 0
	.type	__hip_cuid_9cedda8058c5beec,@object ; @__hip_cuid_9cedda8058c5beec
	.section	.bss,"aw",@nobits
	.globl	__hip_cuid_9cedda8058c5beec
__hip_cuid_9cedda8058c5beec:
	.byte	0                               ; 0x0
	.size	__hip_cuid_9cedda8058c5beec, 1

	.ident	"AMD clang version 19.0.0git (https://github.com/RadeonOpenCompute/llvm-project roc-6.4.0 25133 c7fe45cf4b819c5991fe208aaa96edf142730f1d)"
	.section	".note.GNU-stack","",@progbits
	.addrsig
	.addrsig_sym __hip_cuid_9cedda8058c5beec
	.amdgpu_metadata
---
amdhsa.kernels:
  - .args:
      - .actual_access:  read_only
        .address_space:  global
        .offset:         0
        .size:           8
        .value_kind:     global_buffer
      - .offset:         8
        .size:           8
        .value_kind:     by_value
      - .actual_access:  read_only
        .address_space:  global
        .offset:         16
        .size:           8
        .value_kind:     global_buffer
      - .actual_access:  read_only
        .address_space:  global
        .offset:         24
        .size:           8
        .value_kind:     global_buffer
      - .offset:         32
        .size:           8
        .value_kind:     by_value
      - .actual_access:  read_only
        .address_space:  global
        .offset:         40
        .size:           8
        .value_kind:     global_buffer
      - .actual_access:  read_only
        .address_space:  global
        .offset:         48
        .size:           8
        .value_kind:     global_buffer
      - .offset:         56
        .size:           4
        .value_kind:     by_value
      - .actual_access:  read_only
        .address_space:  global
        .offset:         64
        .size:           8
        .value_kind:     global_buffer
      - .actual_access:  read_only
        .address_space:  global
        .offset:         72
        .size:           8
        .value_kind:     global_buffer
      - .address_space:  global
        .offset:         80
        .size:           8
        .value_kind:     global_buffer
    .group_segment_fixed_size: 0
    .kernarg_segment_align: 8
    .kernarg_segment_size: 88
    .language:       OpenCL C
    .language_version:
      - 2
      - 0
    .max_flat_workgroup_size: 182
    .name:           fft_rtc_back_len1274_factors_2_13_7_7_wgs_182_tpt_182_halfLds_sp_ip_CI_sbrr_dirReg
    .private_segment_fixed_size: 0
    .sgpr_count:     28
    .sgpr_spill_count: 0
    .symbol:         fft_rtc_back_len1274_factors_2_13_7_7_wgs_182_tpt_182_halfLds_sp_ip_CI_sbrr_dirReg.kd
    .uniform_work_group_size: 1
    .uses_dynamic_stack: false
    .vgpr_count:     64
    .vgpr_spill_count: 0
    .wavefront_size: 64
amdhsa.target:   amdgcn-amd-amdhsa--gfx906
amdhsa.version:
  - 1
  - 2
...

	.end_amdgpu_metadata
